;; amdgpu-corpus repo=ROCm/rocFFT kind=compiled arch=gfx906 opt=O3
	.text
	.amdgcn_target "amdgcn-amd-amdhsa--gfx906"
	.amdhsa_code_object_version 6
	.protected	fft_rtc_fwd_len1848_factors_3_11_7_4_2_wgs_231_tpt_231_halfLds_sp_op_CI_CI_unitstride_sbrr_dirReg ; -- Begin function fft_rtc_fwd_len1848_factors_3_11_7_4_2_wgs_231_tpt_231_halfLds_sp_op_CI_CI_unitstride_sbrr_dirReg
	.globl	fft_rtc_fwd_len1848_factors_3_11_7_4_2_wgs_231_tpt_231_halfLds_sp_op_CI_CI_unitstride_sbrr_dirReg
	.p2align	8
	.type	fft_rtc_fwd_len1848_factors_3_11_7_4_2_wgs_231_tpt_231_halfLds_sp_op_CI_CI_unitstride_sbrr_dirReg,@function
fft_rtc_fwd_len1848_factors_3_11_7_4_2_wgs_231_tpt_231_halfLds_sp_op_CI_CI_unitstride_sbrr_dirReg: ; @fft_rtc_fwd_len1848_factors_3_11_7_4_2_wgs_231_tpt_231_halfLds_sp_op_CI_CI_unitstride_sbrr_dirReg
; %bb.0:
	s_load_dwordx4 s[8:11], s[4:5], 0x58
	s_load_dwordx4 s[12:15], s[4:5], 0x0
	;; [unrolled: 1-line block ×3, first 2 shown]
	v_mul_u32_u24_e32 v1, 0x11c, v0
	v_mov_b32_e32 v3, 0
	v_mov_b32_e32 v7, 0
	s_waitcnt lgkmcnt(0)
	v_cmp_lt_u64_e64 s[0:1], s[14:15], 2
	v_add_u32_sdwa v9, s6, v1 dst_sel:DWORD dst_unused:UNUSED_PAD src0_sel:DWORD src1_sel:WORD_1
	v_mov_b32_e32 v10, v3
	s_and_b64 vcc, exec, s[0:1]
	v_mov_b32_e32 v8, 0
	s_cbranch_vccnz .LBB0_8
; %bb.1:
	s_load_dwordx2 s[0:1], s[4:5], 0x10
	s_add_u32 s2, s18, 8
	s_addc_u32 s3, s19, 0
	s_add_u32 s6, s16, 8
	s_addc_u32 s7, s17, 0
	v_mov_b32_e32 v7, 0
	s_waitcnt lgkmcnt(0)
	s_add_u32 s20, s0, 8
	v_mov_b32_e32 v8, 0
	v_mov_b32_e32 v1, v7
	s_addc_u32 s21, s1, 0
	s_mov_b64 s[22:23], 1
	v_mov_b32_e32 v2, v8
.LBB0_2:                                ; =>This Inner Loop Header: Depth=1
	s_load_dwordx2 s[24:25], s[20:21], 0x0
                                        ; implicit-def: $vgpr5_vgpr6
	s_waitcnt lgkmcnt(0)
	v_or_b32_e32 v4, s25, v10
	v_cmp_ne_u64_e32 vcc, 0, v[3:4]
	s_and_saveexec_b64 s[0:1], vcc
	s_xor_b64 s[26:27], exec, s[0:1]
	s_cbranch_execz .LBB0_4
; %bb.3:                                ;   in Loop: Header=BB0_2 Depth=1
	v_cvt_f32_u32_e32 v4, s24
	v_cvt_f32_u32_e32 v5, s25
	s_sub_u32 s0, 0, s24
	s_subb_u32 s1, 0, s25
	v_mac_f32_e32 v4, 0x4f800000, v5
	v_rcp_f32_e32 v4, v4
	v_mul_f32_e32 v4, 0x5f7ffffc, v4
	v_mul_f32_e32 v5, 0x2f800000, v4
	v_trunc_f32_e32 v5, v5
	v_mac_f32_e32 v4, 0xcf800000, v5
	v_cvt_u32_f32_e32 v5, v5
	v_cvt_u32_f32_e32 v4, v4
	v_mul_lo_u32 v6, s0, v5
	v_mul_hi_u32 v11, s0, v4
	v_mul_lo_u32 v13, s1, v4
	v_mul_lo_u32 v12, s0, v4
	v_add_u32_e32 v6, v11, v6
	v_add_u32_e32 v6, v6, v13
	v_mul_hi_u32 v11, v4, v12
	v_mul_lo_u32 v13, v4, v6
	v_mul_hi_u32 v15, v4, v6
	v_mul_hi_u32 v14, v5, v12
	v_mul_lo_u32 v12, v5, v12
	v_mul_hi_u32 v16, v5, v6
	v_add_co_u32_e32 v11, vcc, v11, v13
	v_addc_co_u32_e32 v13, vcc, 0, v15, vcc
	v_mul_lo_u32 v6, v5, v6
	v_add_co_u32_e32 v11, vcc, v11, v12
	v_addc_co_u32_e32 v11, vcc, v13, v14, vcc
	v_addc_co_u32_e32 v12, vcc, 0, v16, vcc
	v_add_co_u32_e32 v6, vcc, v11, v6
	v_addc_co_u32_e32 v11, vcc, 0, v12, vcc
	v_add_co_u32_e32 v4, vcc, v4, v6
	v_addc_co_u32_e32 v5, vcc, v5, v11, vcc
	v_mul_lo_u32 v6, s0, v5
	v_mul_hi_u32 v11, s0, v4
	v_mul_lo_u32 v12, s1, v4
	v_mul_lo_u32 v13, s0, v4
	v_add_u32_e32 v6, v11, v6
	v_add_u32_e32 v6, v6, v12
	v_mul_lo_u32 v14, v4, v6
	v_mul_hi_u32 v15, v4, v13
	v_mul_hi_u32 v16, v4, v6
	v_mul_hi_u32 v12, v5, v13
	v_mul_lo_u32 v13, v5, v13
	v_mul_hi_u32 v11, v5, v6
	v_add_co_u32_e32 v14, vcc, v15, v14
	v_addc_co_u32_e32 v15, vcc, 0, v16, vcc
	v_mul_lo_u32 v6, v5, v6
	v_add_co_u32_e32 v13, vcc, v14, v13
	v_addc_co_u32_e32 v12, vcc, v15, v12, vcc
	v_addc_co_u32_e32 v11, vcc, 0, v11, vcc
	v_add_co_u32_e32 v6, vcc, v12, v6
	v_addc_co_u32_e32 v11, vcc, 0, v11, vcc
	v_add_co_u32_e32 v6, vcc, v4, v6
	v_addc_co_u32_e32 v11, vcc, v5, v11, vcc
	v_mad_u64_u32 v[4:5], s[0:1], v9, v11, 0
	v_mul_hi_u32 v12, v9, v6
	v_add_co_u32_e32 v13, vcc, v12, v4
	v_addc_co_u32_e32 v14, vcc, 0, v5, vcc
	v_mad_u64_u32 v[4:5], s[0:1], v10, v6, 0
	v_mad_u64_u32 v[11:12], s[0:1], v10, v11, 0
	v_add_co_u32_e32 v4, vcc, v13, v4
	v_addc_co_u32_e32 v4, vcc, v14, v5, vcc
	v_addc_co_u32_e32 v5, vcc, 0, v12, vcc
	v_add_co_u32_e32 v11, vcc, v4, v11
	v_addc_co_u32_e32 v6, vcc, 0, v5, vcc
	v_mul_lo_u32 v12, s25, v11
	v_mul_lo_u32 v13, s24, v6
	v_mad_u64_u32 v[4:5], s[0:1], s24, v11, 0
	v_add3_u32 v5, v5, v13, v12
	v_sub_u32_e32 v12, v10, v5
	v_mov_b32_e32 v13, s25
	v_sub_co_u32_e32 v4, vcc, v9, v4
	v_subb_co_u32_e64 v12, s[0:1], v12, v13, vcc
	v_subrev_co_u32_e64 v13, s[0:1], s24, v4
	v_subbrev_co_u32_e64 v12, s[0:1], 0, v12, s[0:1]
	v_cmp_le_u32_e64 s[0:1], s25, v12
	v_cndmask_b32_e64 v14, 0, -1, s[0:1]
	v_cmp_le_u32_e64 s[0:1], s24, v13
	v_cndmask_b32_e64 v13, 0, -1, s[0:1]
	v_cmp_eq_u32_e64 s[0:1], s25, v12
	v_cndmask_b32_e64 v12, v14, v13, s[0:1]
	v_add_co_u32_e64 v13, s[0:1], 2, v11
	v_addc_co_u32_e64 v14, s[0:1], 0, v6, s[0:1]
	v_add_co_u32_e64 v15, s[0:1], 1, v11
	v_addc_co_u32_e64 v16, s[0:1], 0, v6, s[0:1]
	v_subb_co_u32_e32 v5, vcc, v10, v5, vcc
	v_cmp_ne_u32_e64 s[0:1], 0, v12
	v_cmp_le_u32_e32 vcc, s25, v5
	v_cndmask_b32_e64 v12, v16, v14, s[0:1]
	v_cndmask_b32_e64 v14, 0, -1, vcc
	v_cmp_le_u32_e32 vcc, s24, v4
	v_cndmask_b32_e64 v4, 0, -1, vcc
	v_cmp_eq_u32_e32 vcc, s25, v5
	v_cndmask_b32_e32 v4, v14, v4, vcc
	v_cmp_ne_u32_e32 vcc, 0, v4
	v_cndmask_b32_e64 v4, v15, v13, s[0:1]
	v_cndmask_b32_e32 v6, v6, v12, vcc
	v_cndmask_b32_e32 v5, v11, v4, vcc
.LBB0_4:                                ;   in Loop: Header=BB0_2 Depth=1
	s_andn2_saveexec_b64 s[0:1], s[26:27]
	s_cbranch_execz .LBB0_6
; %bb.5:                                ;   in Loop: Header=BB0_2 Depth=1
	v_cvt_f32_u32_e32 v4, s24
	s_sub_i32 s26, 0, s24
	v_rcp_iflag_f32_e32 v4, v4
	v_mul_f32_e32 v4, 0x4f7ffffe, v4
	v_cvt_u32_f32_e32 v4, v4
	v_mul_lo_u32 v5, s26, v4
	v_mul_hi_u32 v5, v4, v5
	v_add_u32_e32 v4, v4, v5
	v_mul_hi_u32 v4, v9, v4
	v_mul_lo_u32 v5, v4, s24
	v_add_u32_e32 v6, 1, v4
	v_sub_u32_e32 v5, v9, v5
	v_subrev_u32_e32 v11, s24, v5
	v_cmp_le_u32_e32 vcc, s24, v5
	v_cndmask_b32_e32 v5, v5, v11, vcc
	v_cndmask_b32_e32 v4, v4, v6, vcc
	v_add_u32_e32 v6, 1, v4
	v_cmp_le_u32_e32 vcc, s24, v5
	v_cndmask_b32_e32 v5, v4, v6, vcc
	v_mov_b32_e32 v6, v3
.LBB0_6:                                ;   in Loop: Header=BB0_2 Depth=1
	s_or_b64 exec, exec, s[0:1]
	v_mul_lo_u32 v4, v6, s24
	v_mul_lo_u32 v13, v5, s25
	v_mad_u64_u32 v[11:12], s[0:1], v5, s24, 0
	s_load_dwordx2 s[0:1], s[6:7], 0x0
	s_load_dwordx2 s[24:25], s[2:3], 0x0
	v_add3_u32 v4, v12, v13, v4
	v_sub_co_u32_e32 v9, vcc, v9, v11
	v_subb_co_u32_e32 v4, vcc, v10, v4, vcc
	s_waitcnt lgkmcnt(0)
	v_mul_lo_u32 v10, s0, v4
	v_mul_lo_u32 v11, s1, v9
	v_mad_u64_u32 v[7:8], s[0:1], s0, v9, v[7:8]
	s_add_u32 s22, s22, 1
	s_addc_u32 s23, s23, 0
	s_add_u32 s2, s2, 8
	v_mul_lo_u32 v4, s24, v4
	v_mul_lo_u32 v12, s25, v9
	v_mad_u64_u32 v[1:2], s[0:1], s24, v9, v[1:2]
	v_add3_u32 v8, v11, v8, v10
	s_addc_u32 s3, s3, 0
	v_mov_b32_e32 v9, s14
	s_add_u32 s6, s6, 8
	v_mov_b32_e32 v10, s15
	s_addc_u32 s7, s7, 0
	v_cmp_ge_u64_e32 vcc, s[22:23], v[9:10]
	s_add_u32 s20, s20, 8
	v_add3_u32 v2, v12, v2, v4
	s_addc_u32 s21, s21, 0
	s_cbranch_vccnz .LBB0_9
; %bb.7:                                ;   in Loop: Header=BB0_2 Depth=1
	v_mov_b32_e32 v10, v6
	v_mov_b32_e32 v9, v5
	s_branch .LBB0_2
.LBB0_8:
	v_mov_b32_e32 v1, v7
	v_mov_b32_e32 v5, v9
	;; [unrolled: 1-line block ×4, first 2 shown]
.LBB0_9:
	s_load_dwordx2 s[2:3], s[4:5], 0x28
	s_lshl_b64 s[6:7], s[14:15], 3
	s_add_u32 s4, s18, s6
	s_addc_u32 s5, s19, s7
                                        ; implicit-def: $vgpr3
	s_waitcnt lgkmcnt(0)
	v_cmp_gt_u64_e64 s[0:1], s[2:3], v[5:6]
	v_cmp_le_u64_e32 vcc, s[2:3], v[5:6]
	s_and_saveexec_b64 s[2:3], vcc
	s_xor_b64 s[2:3], exec, s[2:3]
; %bb.10:
	s_mov_b32 s14, 0x11bb4a5
	v_mul_hi_u32 v3, v0, s14
                                        ; implicit-def: $vgpr7_vgpr8
	v_mul_u32_u24_e32 v3, 0xe7, v3
	v_sub_u32_e32 v3, v0, v3
                                        ; implicit-def: $vgpr0
; %bb.11:
	s_or_saveexec_b64 s[2:3], s[2:3]
	s_load_dwordx2 s[4:5], s[4:5], 0x0
                                        ; implicit-def: $vgpr12
                                        ; implicit-def: $vgpr28
                                        ; implicit-def: $vgpr30
                                        ; implicit-def: $vgpr14
                                        ; implicit-def: $vgpr24
                                        ; implicit-def: $vgpr26
                                        ; implicit-def: $vgpr16
                                        ; implicit-def: $vgpr34
                                        ; implicit-def: $vgpr36
	s_xor_b64 exec, exec, s[2:3]
	s_cbranch_execz .LBB0_15
; %bb.12:
	s_add_u32 s6, s16, s6
	s_addc_u32 s7, s17, s7
	s_load_dwordx2 s[6:7], s[6:7], 0x0
	s_mov_b32 s14, 0x11bb4a5
	v_mul_hi_u32 v3, v0, s14
	v_lshlrev_b64 v[7:8], 3, v[7:8]
                                        ; implicit-def: $vgpr35
                                        ; implicit-def: $vgpr33
	s_waitcnt lgkmcnt(0)
	v_mul_lo_u32 v4, s7, v5
	v_mul_lo_u32 v11, s6, v6
	v_mad_u64_u32 v[9:10], s[6:7], s6, v5, 0
	v_mul_u32_u24_e32 v3, 0xe7, v3
	v_sub_u32_e32 v3, v0, v3
	v_add3_u32 v10, v10, v11, v4
	v_lshlrev_b64 v[9:10], 3, v[9:10]
	v_mov_b32_e32 v0, s9
	v_add_co_u32_e32 v4, vcc, s8, v9
	v_addc_co_u32_e32 v0, vcc, v0, v10, vcc
	v_add_co_u32_e32 v4, vcc, v4, v7
	v_addc_co_u32_e32 v0, vcc, v0, v8, vcc
	v_lshlrev_b32_e32 v7, 3, v3
	v_add_co_u32_e32 v7, vcc, v4, v7
	v_addc_co_u32_e32 v8, vcc, 0, v0, vcc
	s_movk_i32 s6, 0x1000
	v_add_co_u32_e32 v9, vcc, s6, v7
	v_addc_co_u32_e32 v10, vcc, 0, v8, vcc
	v_add_co_u32_e32 v15, vcc, 0x2000, v7
	global_load_dwordx2 v[11:12], v[7:8], off
	v_addc_co_u32_e32 v16, vcc, 0, v8, vcc
	global_load_dwordx2 v[23:24], v[9:10], off offset:2680
	global_load_dwordx2 v[27:28], v[9:10], off offset:832
	;; [unrolled: 1-line block ×5, first 2 shown]
	s_movk_i32 s6, 0x9a
	v_cmp_gt_u32_e32 vcc, s6, v3
                                        ; implicit-def: $vgpr15
	s_and_saveexec_b64 s[6:7], vcc
	s_cbranch_execz .LBB0_14
; %bb.13:
	v_add_co_u32_e32 v9, vcc, 0x2000, v7
	v_addc_co_u32_e32 v10, vcc, 0, v8, vcc
	v_add_co_u32_e32 v17, vcc, 0x3000, v7
	v_addc_co_u32_e32 v18, vcc, 0, v8, vcc
	global_load_dwordx2 v[15:16], v[7:8], off offset:3696
	global_load_dwordx2 v[33:34], v[9:10], off offset:432
	;; [unrolled: 1-line block ×3, first 2 shown]
.LBB0_14:
	s_or_b64 exec, exec, s[6:7]
.LBB0_15:
	s_or_b64 exec, exec, s[2:3]
	s_waitcnt vmcnt(3)
	v_add_f32_e32 v0, v11, v27
	s_waitcnt vmcnt(1)
	v_add_f32_e32 v9, v0, v29
	v_add_f32_e32 v0, v27, v29
	v_fmac_f32_e32 v11, -0.5, v0
	v_sub_f32_e32 v0, v28, v30
	v_mov_b32_e32 v10, v11
	s_waitcnt vmcnt(0)
	v_add_f32_e32 v4, v23, v25
	v_fmac_f32_e32 v10, 0x3f5db3d7, v0
	v_fmac_f32_e32 v11, 0xbf5db3d7, v0
	v_add_f32_e32 v0, v13, v23
	v_fmac_f32_e32 v13, -0.5, v4
	v_sub_f32_e32 v4, v24, v26
	v_mov_b32_e32 v17, v13
	v_add_f32_e32 v7, v33, v35
	v_fmac_f32_e32 v17, 0x3f5db3d7, v4
	v_fmac_f32_e32 v13, 0xbf5db3d7, v4
	v_add_f32_e32 v4, v15, v33
	v_fmac_f32_e32 v15, -0.5, v7
	v_add_f32_e32 v19, v4, v35
	v_mov_b32_e32 v20, v15
	v_sub_f32_e32 v4, v34, v36
	v_fmac_f32_e32 v20, 0x3f5db3d7, v4
	v_fmac_f32_e32 v15, 0xbf5db3d7, v4
	v_mad_u32_u24 v4, v3, 12, 0
	s_movk_i32 s2, 0x9a
	v_add_f32_e32 v22, v0, v25
	v_add_u32_e32 v0, 0xad4, v4
	v_cmp_gt_u32_e64 s[2:3], s2, v3
	ds_write2_b32 v0, v22, v17 offset1:1
	ds_write2_b32 v4, v9, v10 offset1:1
	ds_write_b32 v4, v11 offset:8
	ds_write_b32 v4, v13 offset:2780
	s_and_saveexec_b64 s[6:7], s[2:3]
	s_cbranch_execz .LBB0_17
; %bb.16:
	v_add_u32_e32 v0, 0x15a8, v4
	ds_write2_b32 v0, v19, v20 offset1:1
	ds_write_b32 v4, v15 offset:5552
.LBB0_17:
	s_or_b64 exec, exec, s[6:7]
	s_movk_i32 s6, 0xa8
	v_cmp_gt_u32_e32 vcc, s6, v3
	v_lshlrev_b32_e32 v37, 3, v3
	s_waitcnt lgkmcnt(0)
	s_barrier
	s_waitcnt lgkmcnt(0)
                                        ; implicit-def: $vgpr32
                                        ; implicit-def: $vgpr0
	s_and_saveexec_b64 s[6:7], vcc
	s_cbranch_execz .LBB0_19
; %bb.18:
	v_sub_u32_e32 v0, v4, v37
	v_add_u32_e32 v7, 0x400, v0
	ds_read2_b32 v[21:22], v7 offset0:80 offset1:248
	v_add_u32_e32 v7, 0xa00, v0
	ds_read2_b32 v[17:18], v7 offset0:32 offset1:200
	;; [unrolled: 2-line block ×3, first 2 shown]
	v_add_u32_e32 v7, 0x1400, v0
	ds_read2_b32 v[9:10], v0 offset1:168
	ds_read2_b32 v[31:32], v7 offset0:64 offset1:232
	ds_read_b32 v0, v0 offset:6720
	s_waitcnt lgkmcnt(5)
	v_mov_b32_e32 v11, v21
	s_waitcnt lgkmcnt(4)
	v_mov_b32_e32 v13, v18
	;; [unrolled: 2-line block ×3, first 2 shown]
.LBB0_19:
	s_or_b64 exec, exec, s[6:7]
	v_add_f32_e32 v8, v28, v30
	v_add_f32_e32 v7, v12, v28
	v_fmac_f32_e32 v12, -0.5, v8
	v_sub_f32_e32 v18, v27, v29
	v_mov_b32_e32 v8, v12
	v_fmac_f32_e32 v8, 0xbf5db3d7, v18
	v_fmac_f32_e32 v12, 0x3f5db3d7, v18
	v_add_f32_e32 v18, v14, v24
	v_add_f32_e32 v27, v18, v26
	;; [unrolled: 1-line block ×3, first 2 shown]
	v_fmac_f32_e32 v14, -0.5, v18
	v_sub_f32_e32 v18, v23, v25
	v_mov_b32_e32 v23, v14
	v_fmac_f32_e32 v23, 0xbf5db3d7, v18
	v_fmac_f32_e32 v14, 0x3f5db3d7, v18
	v_add_f32_e32 v18, v16, v34
	v_add_f32_e32 v28, v18, v36
	;; [unrolled: 1-line block ×3, first 2 shown]
	v_fmac_f32_e32 v16, -0.5, v18
	v_sub_f32_e32 v18, v33, v35
	v_mov_b32_e32 v29, v16
	v_add_f32_e32 v7, v7, v30
	v_fmac_f32_e32 v29, 0xbf5db3d7, v18
	v_fmac_f32_e32 v16, 0x3f5db3d7, v18
	v_add_u32_e32 v18, 0xad4, v4
	s_waitcnt lgkmcnt(0)
	s_barrier
	ds_write2_b32 v4, v7, v8 offset1:1
	ds_write_b32 v4, v12 offset:8
	ds_write2_b32 v18, v27, v23 offset1:1
	ds_write_b32 v4, v14 offset:2780
	s_and_saveexec_b64 s[6:7], s[2:3]
	s_cbranch_execz .LBB0_21
; %bb.20:
	v_add_u32_e32 v18, 0x15a8, v4
	ds_write2_b32 v18, v28, v29 offset1:1
	ds_write_b32 v4, v16 offset:5552
.LBB0_21:
	s_or_b64 exec, exec, s[6:7]
	s_waitcnt lgkmcnt(0)
	s_barrier
	s_waitcnt lgkmcnt(0)
                                        ; implicit-def: $vgpr31
                                        ; implicit-def: $vgpr42
	s_and_saveexec_b64 s[2:3], vcc
	s_cbranch_execz .LBB0_23
; %bb.22:
	v_sub_u32_e32 v4, v4, v37
	v_add_u32_e32 v12, 0x400, v4
	ds_read2_b32 v[26:27], v12 offset0:80 offset1:248
	v_add_u32_e32 v12, 0xa00, v4
	ds_read2_b32 v[23:24], v12 offset0:32 offset1:200
	;; [unrolled: 2-line block ×3, first 2 shown]
	v_add_u32_e32 v12, 0xf00, v4
	ds_read2_b32 v[7:8], v4 offset1:168
	ds_read2_b32 v[28:29], v12 offset0:48 offset1:216
	ds_read_b32 v42, v4 offset:6720
	s_waitcnt lgkmcnt(4)
	v_mov_b32_e32 v14, v24
	s_waitcnt lgkmcnt(3)
	v_mov_b32_e32 v16, v30
	v_mov_b32_e32 v12, v26
.LBB0_23:
	s_or_b64 exec, exec, s[2:3]
	s_movk_i32 s2, 0xab
	v_mul_lo_u16_sdwa v4, v3, s2 dst_sel:DWORD dst_unused:UNUSED_PAD src0_sel:BYTE_0 src1_sel:DWORD
	v_lshrrev_b16_e32 v18, 9, v4
	v_mul_lo_u16_e32 v4, 3, v18
	v_sub_u16_e32 v21, v3, v4
	v_mov_b32_e32 v4, 10
	v_mul_u32_u24_sdwa v4, v21, v4 dst_sel:DWORD dst_unused:UNUSED_PAD src0_sel:BYTE_0 src1_sel:DWORD
	v_lshlrev_b32_e32 v4, 3, v4
	global_load_dwordx4 v[43:46], v4, s[12:13] offset:16
	global_load_dwordx4 v[47:50], v4, s[12:13] offset:32
	;; [unrolled: 1-line block ×4, first 2 shown]
	global_load_dwordx4 v[59:62], v4, s[12:13]
	s_mov_b32 s8, 0x3f575c64
	s_mov_b32 s7, 0x3ed4b147
	;; [unrolled: 1-line block ×5, first 2 shown]
	s_waitcnt vmcnt(0) lgkmcnt(0)
	s_barrier
	v_mul_f32_e32 v39, v23, v46
	v_mul_f32_e32 v4, v27, v44
	v_mul_f32_e32 v24, v22, v44
	v_mul_f32_e32 v36, v0, v58
	v_mul_f32_e32 v38, v10, v60
	v_mul_f32_e32 v35, v32, v56
	v_mul_f32_e32 v37, v11, v62
	v_fmac_f32_e32 v36, v42, v57
	v_fmac_f32_e32 v38, v8, v59
	v_mul_f32_e32 v25, v17, v46
	v_mul_f32_e32 v44, v14, v48
	;; [unrolled: 1-line block ×12, first 2 shown]
	v_fma_f32 v40, v17, v45, -v39
	v_fmac_f32_e32 v35, v31, v55
	v_fmac_f32_e32 v37, v12, v61
	v_sub_f32_e32 v17, v38, v36
	v_mul_f32_e32 v56, v12, v62
	v_fmac_f32_e32 v24, v27, v43
	v_fmac_f32_e32 v25, v23, v45
	v_fma_f32 v27, v13, v47, -v44
	v_fmac_f32_e32 v30, v28, v49
	v_fma_f32 v28, v20, v51, -v48
	;; [unrolled: 2-line block ×3, first 2 shown]
	v_fma_f32 v32, v0, v57, -v54
	v_fma_f32 v42, v10, v59, -v58
	v_sub_f32_e32 v23, v37, v35
	v_mul_f32_e32 v13, 0xbf0a6770, v17
	v_mul_f32_e32 v20, 0xbf68dda4, v17
	;; [unrolled: 1-line block ×3, first 2 shown]
	v_fma_f32 v41, v22, v43, -v4
	v_fma_f32 v39, v19, v49, -v46
	v_fmac_f32_e32 v34, v16, v53
	v_fma_f32 v31, v11, v61, -v56
	v_add_f32_e32 v0, v42, v32
	v_mul_f32_e32 v12, 0xbf68dda4, v23
	v_mul_f32_e32 v19, 0xbf4178ce, v23
	;; [unrolled: 1-line block ×3, first 2 shown]
	v_mov_b32_e32 v4, v13
	v_mov_b32_e32 v10, v20
	;; [unrolled: 1-line block ×3, first 2 shown]
	v_fmac_f32_e32 v26, v14, v47
	v_fma_f32 v15, v15, v53, -v50
	v_add_f32_e32 v14, v31, v29
	v_sub_f32_e32 v49, v24, v34
	v_mov_b32_e32 v8, v12
	v_mov_b32_e32 v11, v19
	;; [unrolled: 1-line block ×3, first 2 shown]
	v_fmac_f32_e32 v4, 0x3f575c64, v0
	v_fmac_f32_e32 v10, 0x3ed4b147, v0
	;; [unrolled: 1-line block ×3, first 2 shown]
	v_mul_f32_e32 v22, 0x3e903f40, v49
	v_fmac_f32_e32 v8, 0x3ed4b147, v14
	v_fmac_f32_e32 v11, 0xbf27a4f4, v14
	;; [unrolled: 1-line block ×3, first 2 shown]
	v_add_f32_e32 v4, v9, v4
	v_add_f32_e32 v10, v9, v10
	;; [unrolled: 1-line block ×4, first 2 shown]
	v_mul_f32_e32 v16, 0xbf7d64f0, v49
	v_add_f32_e32 v4, v8, v4
	v_add_f32_e32 v8, v11, v10
	;; [unrolled: 1-line block ×3, first 2 shown]
	v_mov_b32_e32 v48, v22
	v_mul_f32_e32 v47, 0xbf4178ce, v17
	v_mov_b32_e32 v53, v16
	v_fmac_f32_e32 v48, 0xbf75a155, v45
	v_mul_f32_e32 v50, 0x3f68dda4, v49
	v_mul_f32_e32 v46, 0x3f7d64f0, v23
	v_mov_b32_e32 v51, v47
	v_fmac_f32_e32 v53, 0xbe11bafb, v45
	v_add_f32_e32 v8, v48, v8
	v_mov_b32_e32 v48, v50
	v_mov_b32_e32 v52, v46
	v_fmac_f32_e32 v51, 0xbf27a4f4, v0
	v_add_f32_e32 v4, v53, v4
	v_fmac_f32_e32 v48, 0x3ed4b147, v45
	v_mul_f32_e32 v53, 0xbf0a6770, v49
	v_fmac_f32_e32 v52, 0xbe11bafb, v14
	v_add_f32_e32 v51, v9, v51
	v_add_f32_e32 v10, v48, v10
	v_mov_b32_e32 v48, v53
	v_add_f32_e32 v11, v52, v51
	v_fmac_f32_e32 v48, 0x3f575c64, v45
	v_sub_f32_e32 v59, v25, v33
	v_add_f32_e32 v11, v48, v11
	v_mul_f32_e32 v48, 0xbf4178ce, v59
	v_add_f32_e32 v56, v40, v28
	v_mov_b32_e32 v51, v48
	v_fmac_f32_e32 v51, 0xbf27a4f4, v56
	v_add_f32_e32 v4, v51, v4
	v_mul_f32_e32 v51, 0x3f7d64f0, v59
	v_mov_b32_e32 v52, v51
	v_fmac_f32_e32 v52, 0xbe11bafb, v56
	v_mul_f32_e32 v54, 0xbf0a6770, v59
	v_add_f32_e32 v58, v52, v8
	v_mov_b32_e32 v8, v54
	v_fmac_f32_e32 v8, 0x3f575c64, v56
	v_mul_f32_e32 v57, 0xbe903f40, v59
	v_add_f32_e32 v61, v8, v10
	v_mov_b32_e32 v8, v57
	v_sub_f32_e32 v62, v26, v30
	v_fmac_f32_e32 v8, 0xbf75a155, v56
	v_mul_f32_e32 v52, 0xbe903f40, v62
	v_add_f32_e32 v63, v8, v11
	v_add_f32_e32 v60, v27, v39
	v_mov_b32_e32 v8, v52
	v_fmac_f32_e32 v8, 0xbf75a155, v60
	v_mul_f32_e32 v55, 0x3f0a6770, v62
	v_add_f32_e32 v8, v8, v4
	v_mov_b32_e32 v4, v55
	v_fmac_f32_e32 v4, 0x3f575c64, v60
	v_add_f32_e32 v10, v4, v58
	v_mul_f32_e32 v58, 0xbf4178ce, v62
	v_mov_b32_e32 v4, v58
	v_fmac_f32_e32 v4, 0xbf27a4f4, v60
	v_add_f32_e32 v11, v4, v61
	v_mul_f32_e32 v61, 0x3f68dda4, v62
	v_mov_b32_e32 v4, v61
	v_fmac_f32_e32 v4, 0x3ed4b147, v60
	v_add_f32_e32 v4, v4, v63
	s_and_saveexec_b64 s[2:3], vcc
	s_cbranch_execz .LBB0_25
; %bb.24:
	v_mul_f32_e32 v17, 0xbe903f40, v17
	v_mov_b32_e32 v83, v17
	v_mul_f32_e32 v23, 0x3f0a6770, v23
	v_mul_f32_e32 v63, 0x3f575c64, v0
	v_mul_f32_e32 v64, 0x3ed4b147, v0
	v_mul_f32_e32 v65, 0xbe11bafb, v0
	v_mul_f32_e32 v66, 0xbf27a4f4, v0
	v_fmac_f32_e32 v83, 0xbf75a155, v0
	v_mov_b32_e32 v84, v23
	v_fma_f32 v0, v0, s14, -v17
	v_mul_f32_e32 v67, 0x3ed4b147, v14
	v_mul_f32_e32 v68, 0xbf27a4f4, v14
	;; [unrolled: 1-line block ×4, first 2 shown]
	v_fmac_f32_e32 v84, 0x3f575c64, v14
	v_mul_f32_e32 v49, 0xbf4178ce, v49
	v_add_f32_e32 v0, v9, v0
	v_fma_f32 v14, v14, s8, -v23
	v_mul_f32_e32 v59, 0x3f68dda4, v59
	v_add_f32_e32 v0, v14, v0
	v_fma_f32 v14, v45, s9, -v49
	v_mul_f32_e32 v62, 0xbf7d64f0, v62
	v_add_f32_e32 v0, v14, v0
	v_fma_f32 v14, v56, s7, -v59
	v_add_f32_e32 v0, v14, v0
	v_fma_f32 v14, v60, s6, -v62
	v_add_f32_e32 v0, v14, v0
	v_sub_f32_e32 v14, v66, v47
	v_mul_f32_e32 v74, 0x3f575c64, v45
	v_add_f32_e32 v14, v9, v14
	v_sub_f32_e32 v17, v70, v46
	v_mul_f32_e32 v78, 0xbf75a155, v56
	v_add_f32_e32 v14, v17, v14
	v_sub_f32_e32 v17, v74, v53
	v_mul_f32_e32 v82, 0x3ed4b147, v60
	v_add_f32_e32 v14, v17, v14
	v_sub_f32_e32 v17, v78, v57
	v_add_f32_e32 v14, v17, v14
	v_sub_f32_e32 v17, v82, v61
	;; [unrolled: 2-line block ×3, first 2 shown]
	v_sub_f32_e32 v20, v64, v20
	v_sub_f32_e32 v13, v63, v13
	v_add_f32_e32 v83, v9, v83
	v_add_f32_e32 v17, v9, v17
	;; [unrolled: 1-line block ×8, first 2 shown]
	v_mul_f32_e32 v71, 0xbe11bafb, v45
	v_add_f32_e32 v83, v84, v83
	v_mov_b32_e32 v84, v49
	v_sub_f32_e32 v12, v67, v12
	v_add_f32_e32 v9, v9, v27
	v_mul_f32_e32 v75, 0xbf27a4f4, v56
	v_fmac_f32_e32 v84, 0xbf27a4f4, v45
	v_add_f32_e32 v12, v12, v13
	v_sub_f32_e32 v13, v71, v16
	v_add_f32_e32 v9, v9, v39
	v_mul_f32_e32 v72, 0xbf75a155, v45
	v_mul_f32_e32 v73, 0x3ed4b147, v45
	;; [unrolled: 1-line block ×3, first 2 shown]
	v_add_f32_e32 v83, v84, v83
	v_mov_b32_e32 v84, v59
	v_sub_f32_e32 v23, v69, v43
	v_sub_f32_e32 v19, v68, v19
	v_add_f32_e32 v12, v13, v12
	v_sub_f32_e32 v13, v75, v48
	v_add_f32_e32 v9, v9, v28
	v_mul_f32_e32 v76, 0xbe11bafb, v56
	v_mul_f32_e32 v77, 0x3f575c64, v56
	v_fmac_f32_e32 v84, 0x3ed4b147, v56
	v_add_f32_e32 v17, v23, v17
	v_sub_f32_e32 v23, v73, v50
	v_add_f32_e32 v19, v19, v20
	v_sub_f32_e32 v20, v72, v22
	;; [unrolled: 2-line block ×3, first 2 shown]
	v_add_f32_e32 v9, v9, v15
	v_mov_b32_e32 v16, 2
	v_mul_f32_e32 v80, 0x3f575c64, v60
	v_mul_f32_e32 v81, 0xbf27a4f4, v60
	v_add_f32_e32 v83, v84, v83
	v_mov_b32_e32 v84, v62
	v_add_f32_e32 v17, v23, v17
	v_sub_f32_e32 v23, v77, v54
	v_add_f32_e32 v19, v20, v19
	v_sub_f32_e32 v20, v76, v51
	v_add_f32_e32 v12, v13, v12
	v_add_f32_e32 v9, v9, v29
	v_mul_u32_u24_e32 v13, 0x84, v18
	v_lshlrev_b32_sdwa v16, v16, v21 dst_sel:DWORD dst_unused:UNUSED_PAD src0_sel:DWORD src1_sel:BYTE_0
	v_fmac_f32_e32 v84, 0xbe11bafb, v60
	v_add_f32_e32 v17, v23, v17
	v_sub_f32_e32 v23, v81, v58
	v_add_f32_e32 v19, v20, v19
	v_sub_f32_e32 v20, v80, v55
	v_add_f32_e32 v9, v9, v32
	v_add3_u32 v13, 0, v13, v16
	v_add_f32_e32 v83, v84, v83
	v_add_f32_e32 v17, v23, v17
	;; [unrolled: 1-line block ×3, first 2 shown]
	ds_write2_b32 v13, v9, v12 offset1:3
	ds_write2_b32 v13, v19, v17 offset0:6 offset1:9
	ds_write2_b32 v13, v14, v0 offset0:12 offset1:15
	ds_write2_b32 v13, v83, v4 offset0:18 offset1:21
	ds_write2_b32 v13, v11, v10 offset0:24 offset1:27
	ds_write_b32 v13, v8 offset:120
.LBB0_25:
	s_or_b64 exec, exec, s[2:3]
	v_lshl_add_u32 v0, v3, 2, 0
	s_waitcnt lgkmcnt(0)
	s_barrier
	ds_read_b32 v9, v0
	ds_read_b32 v23, v0 offset:1056
	ds_read_b32 v22, v0 offset:2112
	ds_read_b32 v19, v0 offset:3168
	ds_read_b32 v16, v0 offset:4224
	ds_read_b32 v13, v0 offset:5280
	ds_read_b32 v12, v0 offset:6336
	v_cmp_gt_u32_e64 s[2:3], 33, v3
                                        ; implicit-def: $vgpr17
                                        ; implicit-def: $vgpr14
                                        ; implicit-def: $vgpr20
	s_and_saveexec_b64 s[6:7], s[2:3]
	s_cbranch_execz .LBB0_27
; %bb.26:
	ds_read_b32 v4, v0 offset:924
	ds_read_b32 v11, v0 offset:1980
	;; [unrolled: 1-line block ×7, first 2 shown]
.LBB0_27:
	s_or_b64 exec, exec, s[6:7]
	v_sub_f32_e32 v42, v42, v32
	v_add_f32_e32 v43, v38, v36
	s_mov_b32 s15, 0x3f575c64
	v_mul_f32_e32 v47, 0xbf0a6770, v42
	v_fma_f32 v32, v43, s15, -v47
	s_mov_b32 s9, 0x3ed4b147
	v_mul_f32_e32 v48, 0xbf68dda4, v42
	v_add_f32_e32 v45, v7, v32
	v_fma_f32 v32, v43, s9, -v48
	s_mov_b32 s8, 0xbe11bafb
	v_mul_f32_e32 v50, 0xbf7d64f0, v42
	v_add_f32_e32 v46, v7, v32
	;; [unrolled: 4-line block ×3, first 2 shown]
	v_fma_f32 v32, v43, s14, -v58
	v_sub_f32_e32 v44, v31, v29
	v_add_f32_e32 v53, v7, v32
	v_add_f32_e32 v32, v37, v35
	v_mul_f32_e32 v51, 0xbf4178ce, v44
	v_mul_f32_e32 v49, 0xbf68dda4, v44
	v_fma_f32 v31, v32, s14, -v51
	s_mov_b32 s16, 0xbf75a155
	v_mul_f32_e32 v59, 0x3e903f40, v44
	v_fma_f32 v29, v32, s9, -v49
	v_add_f32_e32 v46, v31, v46
	v_fma_f32 v31, v32, s16, -v59
	v_mul_f32_e32 v63, 0x3f7d64f0, v44
	v_add_f32_e32 v29, v29, v45
	v_add_f32_e32 v54, v31, v52
	v_fma_f32 v31, v32, s8, -v63
	v_sub_f32_e32 v45, v41, v15
	v_add_f32_e32 v53, v31, v53
	v_add_f32_e32 v31, v24, v34
	v_mul_f32_e32 v52, 0xbf7d64f0, v45
	v_fma_f32 v15, v31, s8, -v52
	v_mul_f32_e32 v55, 0x3e903f40, v45
	v_mul_f32_e32 v60, 0x3f68dda4, v45
	v_add_f32_e32 v15, v15, v29
	v_fma_f32 v29, v31, s16, -v55
	v_fma_f32 v41, v31, s9, -v60
	v_mul_f32_e32 v64, 0xbf0a6770, v45
	v_add_f32_e32 v29, v29, v46
	v_add_f32_e32 v54, v41, v54
	v_fma_f32 v41, v31, s15, -v64
	v_sub_f32_e32 v46, v40, v28
	v_add_f32_e32 v57, v41, v53
	v_add_f32_e32 v41, v25, v33
	v_mul_f32_e32 v53, 0xbf4178ce, v46
	v_fma_f32 v28, v41, s14, -v53
	v_mul_f32_e32 v56, 0x3f7d64f0, v46
	v_add_f32_e32 v15, v28, v15
	v_fma_f32 v28, v41, s8, -v56
	v_mul_f32_e32 v61, 0xbf0a6770, v46
	v_mul_f32_e32 v65, 0xbe903f40, v46
	v_add_f32_e32 v28, v28, v29
	v_fma_f32 v29, v41, s15, -v61
	v_fma_f32 v40, v41, s16, -v65
	v_sub_f32_e32 v39, v27, v39
	v_add_f32_e32 v29, v29, v54
	v_add_f32_e32 v67, v40, v57
	;; [unrolled: 1-line block ×3, first 2 shown]
	v_mul_f32_e32 v54, 0xbe903f40, v39
	v_fma_f32 v27, v40, s16, -v54
	v_mul_f32_e32 v57, 0x3f0a6770, v39
	v_add_f32_e32 v27, v27, v15
	v_fma_f32 v15, v40, s15, -v57
	v_mul_f32_e32 v62, 0xbf4178ce, v39
	v_add_f32_e32 v28, v15, v28
	;; [unrolled: 3-line block ×3, first 2 shown]
	v_fma_f32 v15, v40, s9, -v66
	v_add_f32_e32 v15, v15, v67
	s_waitcnt lgkmcnt(0)
	s_barrier
	s_and_saveexec_b64 s[6:7], vcc
	s_cbranch_execz .LBB0_29
; %bb.28:
	v_add_f32_e32 v38, v7, v38
	v_add_f32_e32 v37, v38, v37
	;; [unrolled: 1-line block ×8, first 2 shown]
	v_mul_f32_e32 v34, 0xbe903f40, v42
	v_mul_f32_e32 v67, 0x3f575c64, v43
	;; [unrolled: 1-line block ×5, first 2 shown]
	v_add_f32_e32 v24, v24, v35
	v_mov_b32_e32 v35, v34
	v_mul_f32_e32 v71, 0x3ed4b147, v32
	v_add_f32_e32 v25, v47, v67
	v_add_f32_e32 v26, v48, v68
	;; [unrolled: 1-line block ×4, first 2 shown]
	v_fmac_f32_e32 v35, 0xbf75a155, v43
	v_fma_f32 v34, v43, s16, -v34
	v_mul_f32_e32 v72, 0xbf27a4f4, v32
	v_add_f32_e32 v25, v7, v25
	v_add_f32_e32 v26, v7, v26
	;; [unrolled: 1-line block ×7, first 2 shown]
	v_mul_f32_e32 v73, 0xbf75a155, v32
	v_add_f32_e32 v25, v34, v25
	v_add_f32_e32 v34, v51, v72
	v_mul_f32_e32 v74, 0xbe11bafb, v32
	v_add_f32_e32 v26, v34, v26
	v_add_f32_e32 v34, v59, v73
	;; [unrolled: 1-line block ×5, first 2 shown]
	v_mul_f32_e32 v34, 0x3f0a6770, v44
	v_add_f32_e32 v24, v24, v36
	v_mov_b32_e32 v36, v34
	v_mul_f32_e32 v75, 0xbe11bafb, v31
	v_fmac_f32_e32 v36, 0x3f575c64, v32
	v_fma_f32 v32, v32, s15, -v34
	v_mul_f32_e32 v76, 0xbf75a155, v31
	v_add_f32_e32 v7, v32, v7
	v_add_f32_e32 v32, v52, v75
	v_mul_f32_e32 v77, 0x3ed4b147, v31
	v_add_f32_e32 v25, v32, v25
	v_add_f32_e32 v32, v55, v76
	;; [unrolled: 3-line block ×3, first 2 shown]
	v_add_f32_e32 v30, v32, v30
	v_add_f32_e32 v32, v64, v78
	;; [unrolled: 1-line block ×3, first 2 shown]
	v_mul_f32_e32 v33, 0xbf4178ce, v45
	v_mov_b32_e32 v34, v33
	v_mul_f32_e32 v79, 0xbf27a4f4, v41
	v_fmac_f32_e32 v34, 0xbf27a4f4, v31
	v_fma_f32 v31, v31, s14, -v33
	v_mul_f32_e32 v80, 0xbe11bafb, v41
	v_add_f32_e32 v7, v31, v7
	v_add_f32_e32 v31, v53, v79
	v_mul_f32_e32 v81, 0x3f575c64, v41
	v_add_f32_e32 v25, v31, v25
	v_add_f32_e32 v31, v56, v80
	;; [unrolled: 3-line block ×3, first 2 shown]
	v_add_f32_e32 v30, v31, v30
	v_add_f32_e32 v31, v65, v82
	;; [unrolled: 1-line block ×3, first 2 shown]
	v_mul_f32_e32 v32, 0x3f68dda4, v46
	v_mul_f32_e32 v83, 0xbf75a155, v40
	v_mov_b32_e32 v33, v32
	v_fma_f32 v32, v41, s9, -v32
	v_mul_f32_e32 v84, 0x3f575c64, v40
	v_add_f32_e32 v7, v32, v7
	v_add_f32_e32 v32, v54, v83
	v_mul_f32_e32 v85, 0xbf27a4f4, v40
	v_add_f32_e32 v25, v32, v25
	v_add_f32_e32 v32, v57, v84
	;; [unrolled: 3-line block ×3, first 2 shown]
	v_add_f32_e32 v35, v36, v35
	v_add_f32_e32 v30, v32, v30
	;; [unrolled: 1-line block ×4, first 2 shown]
	v_fmac_f32_e32 v33, 0x3ed4b147, v41
	v_add_f32_e32 v31, v32, v31
	v_mul_f32_e32 v32, 0xbf7d64f0, v39
	v_add_f32_e32 v33, v33, v34
	v_mov_b32_e32 v34, v32
	v_fma_f32 v32, v40, s8, -v32
	v_add_f32_e32 v7, v32, v7
	v_mov_b32_e32 v32, 2
	v_mul_u32_u24_e32 v18, 0x84, v18
	v_lshlrev_b32_sdwa v21, v32, v21 dst_sel:DWORD dst_unused:UNUSED_PAD src0_sel:DWORD src1_sel:BYTE_0
	v_fmac_f32_e32 v34, 0xbe11bafb, v40
	v_add3_u32 v18, 0, v18, v21
	v_add_f32_e32 v33, v34, v33
	ds_write2_b32 v18, v24, v25 offset1:3
	ds_write2_b32 v18, v26, v30 offset0:6 offset1:9
	ds_write2_b32 v18, v31, v33 offset0:12 offset1:15
	;; [unrolled: 1-line block ×4, first 2 shown]
	ds_write_b32 v18, v27 offset:120
.LBB0_29:
	s_or_b64 exec, exec, s[6:7]
	s_waitcnt lgkmcnt(0)
	s_barrier
	ds_read_b32 v7, v0
	ds_read_b32 v39, v0 offset:1056
	ds_read_b32 v38, v0 offset:2112
	ds_read_b32 v37, v0 offset:3168
	ds_read_b32 v36, v0 offset:4224
	ds_read_b32 v34, v0 offset:5280
	ds_read_b32 v32, v0 offset:6336
                                        ; implicit-def: $vgpr33
                                        ; implicit-def: $vgpr31
                                        ; implicit-def: $vgpr35
	s_and_saveexec_b64 s[6:7], s[2:3]
	s_cbranch_execz .LBB0_31
; %bb.30:
	ds_read_b32 v15, v0 offset:924
	ds_read_b32 v29, v0 offset:1980
	;; [unrolled: 1-line block ×7, first 2 shown]
.LBB0_31:
	s_or_b64 exec, exec, s[6:7]
	s_movk_i32 s6, 0xf9
	v_mul_lo_u16_sdwa v18, v3, s6 dst_sel:DWORD dst_unused:UNUSED_PAD src0_sel:BYTE_0 src1_sel:DWORD
	v_lshrrev_b16_e32 v71, 13, v18
	v_add_u32_e32 v21, 0xe7, v3
	s_mov_b32 s6, 0xf83f
	v_mul_lo_u16_e32 v18, 33, v71
	v_mul_u32_u24_sdwa v24, v21, s6 dst_sel:DWORD dst_unused:UNUSED_PAD src0_sel:WORD_0 src1_sel:DWORD
	v_sub_u16_e32 v72, v3, v18
	v_mov_b32_e32 v18, 6
	v_lshrrev_b32_e32 v24, 21, v24
	v_mul_u32_u24_sdwa v18, v72, v18 dst_sel:DWORD dst_unused:UNUSED_PAD src0_sel:BYTE_0 src1_sel:DWORD
	v_mul_lo_u16_e32 v24, 33, v24
	v_lshlrev_b32_e32 v18, 3, v18
	v_sub_u16_e32 v73, v21, v24
	global_load_dwordx4 v[47:50], v18, s[12:13] offset:240
	global_load_dwordx4 v[51:54], v18, s[12:13] offset:256
	;; [unrolled: 1-line block ×3, first 2 shown]
	v_mul_u32_u24_e32 v18, 6, v73
	v_lshlrev_b32_e32 v18, 3, v18
	global_load_dwordx4 v[59:62], v18, s[12:13] offset:240
	global_load_dwordx4 v[63:66], v18, s[12:13] offset:256
	;; [unrolled: 1-line block ×3, first 2 shown]
	s_mov_b32 s8, 0x3f5ff5aa
	s_mov_b32 s9, 0x3f3bfb3b
	;; [unrolled: 1-line block ×4, first 2 shown]
	s_waitcnt vmcnt(0) lgkmcnt(0)
	s_barrier
	v_mul_f32_e32 v46, v39, v48
	v_mul_f32_e32 v40, v23, v48
	;; [unrolled: 1-line block ×17, first 2 shown]
	v_fma_f32 v46, v23, v47, -v46
	v_fmac_f32_e32 v40, v39, v47
	v_fma_f32 v39, v22, v49, -v48
	v_fma_f32 v13, v13, v55, -v54
	;; [unrolled: 1-line block ×3, first 2 shown]
	v_mul_f32_e32 v24, v8, v64
	v_mul_f32_e32 v64, v33, v66
	;; [unrolled: 1-line block ×3, first 2 shown]
	v_fmac_f32_e32 v41, v38, v49
	v_fma_f32 v38, v19, v51, -v50
	v_fma_f32 v16, v16, v53, -v52
	;; [unrolled: 1-line block ×4, first 2 shown]
	v_add_f32_e32 v8, v46, v12
	v_add_f32_e32 v11, v39, v13
	v_mul_f32_e32 v25, v17, v66
	v_mul_f32_e32 v66, v35, v68
	;; [unrolled: 1-line block ×4, first 2 shown]
	v_fmac_f32_e32 v42, v37, v51
	v_fmac_f32_e32 v43, v36, v53
	;; [unrolled: 1-line block ×5, first 2 shown]
	v_fma_f32 v27, v17, v65, -v64
	v_fmac_f32_e32 v30, v31, v69
	v_add_f32_e32 v17, v38, v16
	v_add_f32_e32 v31, v11, v8
	v_fmac_f32_e32 v18, v29, v59
	v_fma_f32 v22, v10, v61, -v60
	v_fmac_f32_e32 v21, v28, v61
	v_fma_f32 v28, v14, v69, -v68
	v_sub_f32_e32 v10, v40, v45
	v_sub_f32_e32 v14, v41, v44
	;; [unrolled: 1-line block ×6, first 2 shown]
	v_add_f32_e32 v17, v17, v31
	v_fmac_f32_e32 v25, v33, v65
	v_add_f32_e32 v33, v29, v14
	v_sub_f32_e32 v34, v29, v14
	v_sub_f32_e32 v14, v14, v10
	v_add_f32_e32 v9, v9, v17
	v_fmac_f32_e32 v26, v35, v67
	v_sub_f32_e32 v29, v10, v29
	v_add_f32_e32 v10, v33, v10
	v_mul_f32_e32 v8, 0x3f4a47b2, v8
	v_mul_f32_e32 v31, 0x3d64c772, v11
	;; [unrolled: 1-line block ×4, first 2 shown]
	v_mov_b32_e32 v35, v9
	v_fmac_f32_e32 v35, 0xbf955555, v17
	v_fma_f32 v17, v32, s9, -v31
	v_fma_f32 v31, v32, s14, -v8
	v_fmac_f32_e32 v8, 0x3d64c772, v11
	v_fma_f32 v11, v14, s8, -v33
	v_fma_f32 v14, v29, s15, -v34
	v_fmac_f32_e32 v33, 0x3eae86e6, v29
	v_add_f32_e32 v29, v31, v35
	v_fmac_f32_e32 v14, 0x3ee1c552, v10
	v_add_f32_e32 v17, v17, v35
	;; [unrolled: 2-line block ×3, first 2 shown]
	v_sub_f32_e32 v14, v29, v14
	v_mov_b32_e32 v29, 2
	v_add_f32_e32 v8, v8, v35
	v_fmac_f32_e32 v33, 0x3ee1c552, v10
	v_sub_f32_e32 v34, v17, v11
	v_add_f32_e32 v11, v11, v17
	v_mul_u32_u24_e32 v17, 0x39c, v71
	v_lshlrev_b32_sdwa v29, v29, v72 dst_sel:DWORD dst_unused:UNUSED_PAD src0_sel:DWORD src1_sel:BYTE_0
	v_fma_f32 v20, v20, v67, -v66
	v_add_f32_e32 v10, v33, v8
	v_add3_u32 v31, 0, v17, v29
	v_lshl_add_u32 v29, v73, 2, 0
	v_sub_f32_e32 v8, v8, v33
	ds_write2_b32 v31, v9, v10 offset1:33
	ds_write2_b32 v31, v32, v34 offset0:66 offset1:99
	ds_write2_b32 v31, v11, v14 offset0:132 offset1:165
	ds_write_b32 v31, v8 offset:792
	s_and_saveexec_b64 s[6:7], s[2:3]
	s_cbranch_execz .LBB0_33
; %bb.32:
	v_add_f32_e32 v8, v19, v28
	v_add_f32_e32 v9, v23, v27
	v_sub_f32_e32 v10, v8, v9
	v_mul_f32_e32 v10, 0x3f4a47b2, v10
	v_add_f32_e32 v11, v22, v20
	v_sub_f32_e32 v14, v9, v11
	v_mov_b32_e32 v32, v10
	v_mul_f32_e32 v17, 0x3d64c772, v14
	v_fmac_f32_e32 v32, 0x3d64c772, v14
	v_add_f32_e32 v14, v11, v8
	v_add_f32_e32 v9, v9, v14
	;; [unrolled: 1-line block ×3, first 2 shown]
	v_mov_b32_e32 v14, v4
	v_sub_f32_e32 v33, v25, v24
	v_sub_f32_e32 v35, v21, v26
	v_fmac_f32_e32 v14, 0xbf955555, v9
	v_sub_f32_e32 v36, v33, v35
	v_add_f32_e32 v9, v32, v14
	v_sub_f32_e32 v32, v18, v30
	v_mul_f32_e32 v36, 0xbf08b237, v36
	v_sub_f32_e32 v34, v32, v33
	v_mov_b32_e32 v37, v36
	v_add_f32_e32 v33, v33, v35
	v_sub_f32_e32 v8, v11, v8
	v_sub_f32_e32 v11, v35, v32
	v_fmac_f32_e32 v37, 0x3eae86e6, v34
	v_add_f32_e32 v33, v33, v32
	v_fma_f32 v10, v8, s14, -v10
	v_mul_f32_e32 v32, 0x3f5ff5aa, v11
	v_fma_f32 v11, v11, s8, -v36
	v_fma_f32 v8, v8, s9, -v17
	v_fmac_f32_e32 v37, 0x3ee1c552, v33
	v_fma_f32 v32, v34, s15, -v32
	v_fmac_f32_e32 v11, 0x3ee1c552, v33
	v_add_f32_e32 v8, v8, v14
	v_sub_f32_e32 v47, v9, v37
	v_add_f32_e32 v10, v10, v14
	v_fmac_f32_e32 v32, 0x3ee1c552, v33
	v_add_f32_e32 v14, v11, v8
	v_sub_f32_e32 v8, v8, v11
	v_add_f32_e32 v9, v37, v9
	v_add_u32_e32 v11, 0x1800, v29
	v_sub_f32_e32 v34, v10, v32
	v_add_f32_e32 v10, v32, v10
	ds_write2_b32 v11, v4, v9 offset0:81 offset1:114
	ds_write2_b32 v11, v10, v8 offset0:147 offset1:180
	;; [unrolled: 1-line block ×3, first 2 shown]
	ds_write_b32 v29, v47 offset:7260
.LBB0_33:
	s_or_b64 exec, exec, s[6:7]
	v_add_f32_e32 v4, v40, v45
	v_add_f32_e32 v9, v41, v44
	v_sub_f32_e32 v10, v39, v13
	v_add_f32_e32 v11, v42, v43
	v_add_f32_e32 v13, v9, v4
	v_sub_f32_e32 v8, v46, v12
	v_sub_f32_e32 v12, v16, v38
	;; [unrolled: 1-line block ×5, first 2 shown]
	v_add_f32_e32 v11, v11, v13
	v_sub_f32_e32 v17, v12, v10
	v_add_f32_e32 v32, v7, v11
	v_add_f32_e32 v16, v12, v10
	v_sub_f32_e32 v12, v8, v12
	v_sub_f32_e32 v10, v10, v8
	v_mul_f32_e32 v4, 0x3f4a47b2, v4
	v_mul_f32_e32 v13, 0xbf08b237, v17
	v_mov_b32_e32 v17, v32
	v_add_f32_e32 v8, v16, v8
	v_mul_f32_e32 v7, 0x3d64c772, v9
	v_mul_f32_e32 v16, 0x3f5ff5aa, v10
	v_fmac_f32_e32 v17, 0xbf955555, v11
	v_fma_f32 v11, v14, s14, -v4
	v_fmac_f32_e32 v4, 0x3d64c772, v9
	v_fma_f32 v9, v10, s8, -v13
	;; [unrolled: 2-line block ×3, first 2 shown]
	v_fma_f32 v10, v12, s15, -v16
	v_add_f32_e32 v4, v4, v17
	v_fmac_f32_e32 v13, 0x3ee1c552, v8
	v_add_f32_e32 v7, v7, v17
	v_add_f32_e32 v11, v11, v17
	v_fmac_f32_e32 v9, 0x3ee1c552, v8
	v_fmac_f32_e32 v10, 0x3ee1c552, v8
	v_sub_f32_e32 v33, v4, v13
	v_add_f32_e32 v38, v13, v4
	v_add_u32_e32 v4, 0x700, v0
	v_add_u32_e32 v16, 0xe40, v0
	;; [unrolled: 1-line block ×3, first 2 shown]
	v_sub_f32_e32 v34, v11, v10
	v_add_f32_e32 v35, v9, v7
	v_sub_f32_e32 v36, v7, v9
	v_add_f32_e32 v37, v10, v11
	s_waitcnt lgkmcnt(0)
	s_barrier
	ds_read2_b32 v[7:8], v0 offset1:231
	ds_read2_b32 v[9:10], v4 offset0:14 offset1:245
	ds_read2_b32 v[11:12], v16 offset0:12 offset1:243
	ds_read2_b32 v[13:14], v17 offset0:10 offset1:241
	s_waitcnt lgkmcnt(0)
	s_barrier
	ds_write2_b32 v31, v32, v33 offset1:33
	ds_write2_b32 v31, v34, v35 offset0:66 offset1:99
	ds_write2_b32 v31, v36, v37 offset0:132 offset1:165
	ds_write_b32 v31, v38 offset:792
	s_and_saveexec_b64 s[6:7], s[2:3]
	s_cbranch_execz .LBB0_35
; %bb.34:
	v_add_f32_e32 v18, v18, v30
	v_add_f32_e32 v21, v21, v26
	v_sub_f32_e32 v20, v22, v20
	v_add_f32_e32 v22, v24, v25
	v_add_f32_e32 v24, v21, v18
	v_sub_f32_e32 v25, v21, v18
	v_sub_f32_e32 v18, v18, v22
	;; [unrolled: 1-line block ×3, first 2 shown]
	v_add_f32_e32 v22, v22, v24
	v_sub_f32_e32 v23, v27, v23
	v_add_f32_e32 v15, v15, v22
	v_sub_f32_e32 v19, v19, v28
	;; [unrolled: 2-line block ×3, first 2 shown]
	v_mul_f32_e32 v24, 0x3d64c772, v21
	v_mov_b32_e32 v28, v15
	s_mov_b32 s3, 0x3f3bfb3b
	v_sub_f32_e32 v23, v19, v23
	v_sub_f32_e32 v20, v20, v19
	v_add_f32_e32 v19, v26, v19
	v_mul_f32_e32 v18, 0x3f4a47b2, v18
	v_mul_f32_e32 v26, 0xbf08b237, v27
	s_mov_b32 s2, 0x3f5ff5aa
	v_fmac_f32_e32 v28, 0xbf955555, v22
	v_fma_f32 v22, v25, s3, -v24
	s_mov_b32 s3, 0xbf3bfb3b
	v_mul_f32_e32 v27, 0x3f5ff5aa, v20
	v_fma_f32 v24, v25, s3, -v18
	v_fmac_f32_e32 v18, 0x3d64c772, v21
	v_fma_f32 v20, v20, s2, -v26
	v_fmac_f32_e32 v26, 0x3eae86e6, v23
	s_mov_b32 s2, 0xbeae86e6
	v_fma_f32 v21, v23, s2, -v27
	v_add_f32_e32 v18, v18, v28
	v_add_f32_e32 v22, v22, v28
	v_fmac_f32_e32 v26, 0x3ee1c552, v19
	v_fmac_f32_e32 v20, 0x3ee1c552, v19
	v_add_f32_e32 v23, v24, v28
	v_fmac_f32_e32 v21, 0x3ee1c552, v19
	v_sub_f32_e32 v19, v18, v26
	v_add_f32_e32 v25, v20, v22
	v_sub_f32_e32 v20, v22, v20
	v_add_u32_e32 v22, 0x1800, v29
	v_sub_f32_e32 v24, v23, v21
	v_add_f32_e32 v21, v21, v23
	v_add_f32_e32 v18, v26, v18
	ds_write2_b32 v22, v15, v19 offset0:81 offset1:114
	ds_write2_b32 v22, v24, v25 offset0:147 offset1:180
	ds_write2_b32 v22, v20, v21 offset0:213 offset1:246
	ds_write_b32 v29, v18 offset:7260
.LBB0_35:
	s_or_b64 exec, exec, s[6:7]
	v_mul_u32_u24_e32 v15, 3, v3
	v_lshlrev_b32_e32 v15, 3, v15
	s_waitcnt lgkmcnt(0)
	s_barrier
	global_load_dwordx4 v[18:21], v15, s[12:13] offset:1824
	global_load_dwordx2 v[22:23], v15, s[12:13] offset:1840
	ds_read2_b32 v[24:25], v0 offset1:231
	ds_read2_b32 v[26:27], v4 offset0:14 offset1:245
	ds_read2_b32 v[28:29], v16 offset0:12 offset1:243
	;; [unrolled: 1-line block ×3, first 2 shown]
	s_waitcnt vmcnt(0) lgkmcnt(0)
	s_barrier
	v_mul_f32_e32 v15, v26, v19
	v_mul_f32_e32 v33, v28, v21
	;; [unrolled: 1-line block ×12, first 2 shown]
	v_fma_f32 v9, v9, v18, -v15
	v_fma_f32 v11, v11, v20, -v33
	v_fma_f32 v13, v13, v22, -v35
	v_fma_f32 v10, v10, v18, -v37
	v_fma_f32 v12, v12, v20, -v38
	v_fma_f32 v14, v14, v22, -v39
	v_fmac_f32_e32 v32, v26, v18
	v_fmac_f32_e32 v34, v28, v20
	;; [unrolled: 1-line block ×6, first 2 shown]
	v_sub_f32_e32 v11, v7, v11
	v_sub_f32_e32 v13, v9, v13
	v_sub_f32_e32 v12, v8, v12
	v_sub_f32_e32 v14, v10, v14
	v_sub_f32_e32 v15, v24, v34
	v_sub_f32_e32 v18, v32, v36
	v_sub_f32_e32 v20, v25, v21
	v_sub_f32_e32 v21, v19, v23
	v_fma_f32 v7, v7, 2.0, -v11
	v_fma_f32 v9, v9, 2.0, -v13
	;; [unrolled: 1-line block ×6, first 2 shown]
	v_sub_f32_e32 v18, v11, v18
	v_add_f32_e32 v24, v15, v13
	v_fma_f32 v13, v25, 2.0, -v20
	v_fma_f32 v19, v19, 2.0, -v21
	v_sub_f32_e32 v21, v12, v21
	v_sub_f32_e32 v9, v7, v9
	;; [unrolled: 1-line block ×3, first 2 shown]
	v_fma_f32 v11, v11, 2.0, -v18
	v_sub_f32_e32 v19, v13, v19
	v_fma_f32 v12, v12, 2.0, -v21
	v_fma_f32 v7, v7, 2.0, -v9
	;; [unrolled: 1-line block ×3, first 2 shown]
	v_add_f32_e32 v25, v20, v14
	v_fma_f32 v26, v13, 2.0, -v19
	ds_write2_b32 v4, v9, v18 offset0:14 offset1:245
	ds_write2_b32 v17, v10, v21 offset0:10 offset1:241
	ds_write2_b32 v0, v7, v11 offset1:231
	ds_write2_b32 v16, v8, v12 offset0:12 offset1:243
	s_waitcnt lgkmcnt(0)
	s_barrier
	ds_read2_b32 v[7:8], v0 offset1:231
	ds_read2_b32 v[11:12], v16 offset0:12 offset1:243
	ds_read2_b32 v[9:10], v4 offset0:14 offset1:245
	ds_read2_b32 v[13:14], v17 offset0:10 offset1:241
	v_sub_f32_e32 v23, v22, v23
	v_fma_f32 v15, v15, 2.0, -v24
	v_fma_f32 v22, v22, 2.0, -v23
	;; [unrolled: 1-line block ×3, first 2 shown]
	s_waitcnt lgkmcnt(0)
	s_barrier
	ds_write2_b32 v0, v22, v15 offset1:231
	ds_write2_b32 v4, v23, v24 offset0:14 offset1:245
	ds_write2_b32 v16, v26, v20 offset0:12 offset1:243
	;; [unrolled: 1-line block ×3, first 2 shown]
	s_waitcnt lgkmcnt(0)
	s_barrier
	s_and_saveexec_b64 s[2:3], s[0:1]
	s_cbranch_execz .LBB0_37
; %bb.36:
	v_add_u32_e32 v15, 0x2b5, v3
	v_mov_b32_e32 v16, 0
	v_lshlrev_b64 v[17:18], 3, v[15:16]
	v_mov_b32_e32 v15, s13
	v_add_co_u32_e32 v4, vcc, s12, v17
	v_addc_co_u32_e32 v18, vcc, v15, v18, vcc
	s_movk_i32 s2, 0x1000
	v_add_co_u32_e32 v17, vcc, s2, v4
	v_mov_b32_e32 v4, v16
	v_lshlrev_b64 v[19:20], 3, v[3:4]
	v_addc_co_u32_e32 v18, vcc, 0, v18, vcc
	v_add_co_u32_e32 v4, vcc, s12, v19
	v_addc_co_u32_e32 v15, vcc, v15, v20, vcc
	s_movk_i32 s0, 0x2000
	v_add_co_u32_e32 v19, vcc, s0, v4
	v_addc_co_u32_e32 v20, vcc, 0, v15, vcc
	global_load_dwordx2 v[17:18], v[17:18], off offset:3272
	v_add_co_u32_e32 v21, vcc, s2, v4
	v_addc_co_u32_e32 v22, vcc, 0, v15, vcc
	global_load_dwordx2 v[23:24], v[19:20], off offset:2872
	global_load_dwordx2 v[25:26], v[21:22], off offset:3272
	;; [unrolled: 1-line block ×3, first 2 shown]
	v_mul_lo_u32 v15, s5, v5
	v_mul_lo_u32 v6, s4, v6
	v_mad_u64_u32 v[4:5], s[0:1], s4, v5, 0
	v_add_u32_e32 v21, 0x700, v0
	v_add_u32_e32 v29, 0x1580, v0
	;; [unrolled: 1-line block ×3, first 2 shown]
	v_lshrrev_b32_e32 v30, 2, v3
	s_mov_b32 s0, 0x23769481
	ds_read2_b32 v[19:20], v0 offset1:231
	v_lshlrev_b64 v[0:1], 3, v[1:2]
	ds_read2_b32 v[21:22], v21 offset0:14 offset1:245
	v_mul_hi_u32 v2, v30, s0
	ds_read2_b32 v[29:30], v29 offset0:10 offset1:241
	ds_read2_b32 v[31:32], v31 offset0:12 offset1:243
	v_add3_u32 v5, v5, v6, v15
	v_lshlrev_b64 v[4:5], 3, v[4:5]
	v_mov_b32_e32 v33, s11
	v_add_co_u32_e32 v6, vcc, s10, v4
	v_addc_co_u32_e32 v33, vcc, v33, v5, vcc
	v_lshrrev_b32_e32 v2, 5, v2
	v_mul_u32_u24_e32 v2, 0x39c, v2
	v_sub_u32_e32 v2, v3, v2
	v_add_co_u32_e32 v6, vcc, v6, v0
	v_lshlrev_b32_e32 v0, 3, v2
	v_add_u32_e32 v2, 0xe7, v3
	s_movk_i32 s1, 0x738
	s_waitcnt vmcnt(3)
	v_mul_f32_e32 v4, v14, v18
	s_waitcnt lgkmcnt(1)
	v_mul_f32_e32 v5, v30, v18
	v_fmac_f32_e32 v4, v30, v17
	v_fma_f32 v14, v14, v17, -v5
	s_waitcnt vmcnt(2)
	v_mul_f32_e32 v15, v13, v24
	v_mul_f32_e32 v17, v29, v24
	s_waitcnt vmcnt(0)
	v_mul_f32_e32 v18, v12, v28
	s_waitcnt lgkmcnt(0)
	v_mul_f32_e32 v24, v32, v28
	v_mul_f32_e32 v28, v11, v26
	;; [unrolled: 1-line block ×3, first 2 shown]
	v_sub_f32_e32 v5, v22, v4
	v_sub_f32_e32 v4, v10, v14
	v_fmac_f32_e32 v15, v29, v23
	v_fma_f32 v14, v13, v23, -v17
	v_fmac_f32_e32 v18, v32, v27
	v_fmac_f32_e32 v28, v31, v25
	v_fma_f32 v23, v11, v25, -v26
	v_fma_f32 v17, v12, v27, -v24
	v_sub_f32_e32 v13, v21, v15
	v_sub_f32_e32 v12, v9, v14
	;; [unrolled: 1-line block ×5, first 2 shown]
	v_fma_f32 v11, v22, 2.0, -v5
	v_fma_f32 v22, v21, 2.0, -v13
	;; [unrolled: 1-line block ×6, first 2 shown]
	v_addc_co_u32_e32 v7, vcc, v33, v1, vcc
	v_add_co_u32_e32 v0, vcc, v6, v0
	v_addc_co_u32_e32 v1, vcc, 0, v7, vcc
	global_store_dwordx2 v[0:1], v[19:20], off
	v_lshrrev_b32_e32 v19, 2, v2
	v_mul_hi_u32 v19, v19, s0
	v_add_co_u32_e32 v0, vcc, s2, v0
	v_addc_co_u32_e32 v1, vcc, 0, v1, vcc
	global_store_dwordx2 v[0:1], v[14:15], off offset:3296
	v_lshrrev_b32_e32 v0, 5, v19
	v_mul_u32_u24_e32 v1, 0x39c, v0
	v_sub_u32_e32 v1, v2, v1
	v_mad_u32_u24 v15, v0, s1, v1
	v_lshlrev_b64 v[0:1], 3, v[15:16]
	v_sub_f32_e32 v17, v8, v17
	v_add_co_u32_e32 v0, vcc, v6, v0
	v_fma_f32 v8, v8, 2.0, -v17
	v_addc_co_u32_e32 v1, vcc, v7, v1, vcc
	v_add_u32_e32 v2, 0x1ce, v3
	global_store_dwordx2 v[0:1], v[8:9], off
	v_add_u32_e32 v15, 0x39c, v15
	v_lshrrev_b32_e32 v8, 2, v2
	v_lshlrev_b64 v[0:1], 3, v[15:16]
	v_mul_hi_u32 v8, v8, s0
	v_add_co_u32_e32 v0, vcc, v6, v0
	v_addc_co_u32_e32 v1, vcc, v7, v1, vcc
	global_store_dwordx2 v[0:1], v[17:18], off
	v_lshrrev_b32_e32 v0, 5, v8
	v_mul_u32_u24_e32 v1, 0x39c, v0
	v_sub_u32_e32 v1, v2, v1
	v_mad_u32_u24 v15, v0, s1, v1
	v_lshlrev_b64 v[0:1], 3, v[15:16]
	v_add_u32_e32 v2, 0x2b5, v3
	v_add_co_u32_e32 v0, vcc, v6, v0
	v_addc_co_u32_e32 v1, vcc, v7, v1, vcc
	v_add_u32_e32 v15, 0x39c, v15
	v_lshrrev_b32_e32 v3, 2, v2
	global_store_dwordx2 v[0:1], v[21:22], off
	v_lshlrev_b64 v[0:1], 3, v[15:16]
	v_mul_hi_u32 v3, v3, s0
	v_add_co_u32_e32 v0, vcc, v6, v0
	v_addc_co_u32_e32 v1, vcc, v7, v1, vcc
	global_store_dwordx2 v[0:1], v[12:13], off
	v_lshrrev_b32_e32 v0, 5, v3
	v_mul_u32_u24_e32 v1, 0x39c, v0
	v_sub_u32_e32 v1, v2, v1
	v_mad_u32_u24 v15, v0, s1, v1
	v_lshlrev_b64 v[0:1], 3, v[15:16]
	v_fma_f32 v10, v10, 2.0, -v4
	v_add_co_u32_e32 v0, vcc, v6, v0
	v_addc_co_u32_e32 v1, vcc, v7, v1, vcc
	v_add_u32_e32 v15, 0x39c, v15
	global_store_dwordx2 v[0:1], v[10:11], off
	v_lshlrev_b64 v[0:1], 3, v[15:16]
	v_add_co_u32_e32 v0, vcc, v6, v0
	v_addc_co_u32_e32 v1, vcc, v7, v1, vcc
	global_store_dwordx2 v[0:1], v[4:5], off
.LBB0_37:
	s_endpgm
	.section	.rodata,"a",@progbits
	.p2align	6, 0x0
	.amdhsa_kernel fft_rtc_fwd_len1848_factors_3_11_7_4_2_wgs_231_tpt_231_halfLds_sp_op_CI_CI_unitstride_sbrr_dirReg
		.amdhsa_group_segment_fixed_size 0
		.amdhsa_private_segment_fixed_size 0
		.amdhsa_kernarg_size 104
		.amdhsa_user_sgpr_count 6
		.amdhsa_user_sgpr_private_segment_buffer 1
		.amdhsa_user_sgpr_dispatch_ptr 0
		.amdhsa_user_sgpr_queue_ptr 0
		.amdhsa_user_sgpr_kernarg_segment_ptr 1
		.amdhsa_user_sgpr_dispatch_id 0
		.amdhsa_user_sgpr_flat_scratch_init 0
		.amdhsa_user_sgpr_private_segment_size 0
		.amdhsa_uses_dynamic_stack 0
		.amdhsa_system_sgpr_private_segment_wavefront_offset 0
		.amdhsa_system_sgpr_workgroup_id_x 1
		.amdhsa_system_sgpr_workgroup_id_y 0
		.amdhsa_system_sgpr_workgroup_id_z 0
		.amdhsa_system_sgpr_workgroup_info 0
		.amdhsa_system_vgpr_workitem_id 0
		.amdhsa_next_free_vgpr 87
		.amdhsa_next_free_sgpr 28
		.amdhsa_reserve_vcc 1
		.amdhsa_reserve_flat_scratch 0
		.amdhsa_float_round_mode_32 0
		.amdhsa_float_round_mode_16_64 0
		.amdhsa_float_denorm_mode_32 3
		.amdhsa_float_denorm_mode_16_64 3
		.amdhsa_dx10_clamp 1
		.amdhsa_ieee_mode 1
		.amdhsa_fp16_overflow 0
		.amdhsa_exception_fp_ieee_invalid_op 0
		.amdhsa_exception_fp_denorm_src 0
		.amdhsa_exception_fp_ieee_div_zero 0
		.amdhsa_exception_fp_ieee_overflow 0
		.amdhsa_exception_fp_ieee_underflow 0
		.amdhsa_exception_fp_ieee_inexact 0
		.amdhsa_exception_int_div_zero 0
	.end_amdhsa_kernel
	.text
.Lfunc_end0:
	.size	fft_rtc_fwd_len1848_factors_3_11_7_4_2_wgs_231_tpt_231_halfLds_sp_op_CI_CI_unitstride_sbrr_dirReg, .Lfunc_end0-fft_rtc_fwd_len1848_factors_3_11_7_4_2_wgs_231_tpt_231_halfLds_sp_op_CI_CI_unitstride_sbrr_dirReg
                                        ; -- End function
	.section	.AMDGPU.csdata,"",@progbits
; Kernel info:
; codeLenInByte = 7960
; NumSgprs: 32
; NumVgprs: 87
; ScratchSize: 0
; MemoryBound: 0
; FloatMode: 240
; IeeeMode: 1
; LDSByteSize: 0 bytes/workgroup (compile time only)
; SGPRBlocks: 3
; VGPRBlocks: 21
; NumSGPRsForWavesPerEU: 32
; NumVGPRsForWavesPerEU: 87
; Occupancy: 2
; WaveLimiterHint : 1
; COMPUTE_PGM_RSRC2:SCRATCH_EN: 0
; COMPUTE_PGM_RSRC2:USER_SGPR: 6
; COMPUTE_PGM_RSRC2:TRAP_HANDLER: 0
; COMPUTE_PGM_RSRC2:TGID_X_EN: 1
; COMPUTE_PGM_RSRC2:TGID_Y_EN: 0
; COMPUTE_PGM_RSRC2:TGID_Z_EN: 0
; COMPUTE_PGM_RSRC2:TIDIG_COMP_CNT: 0
	.type	__hip_cuid_1f8eb663ce258865,@object ; @__hip_cuid_1f8eb663ce258865
	.section	.bss,"aw",@nobits
	.globl	__hip_cuid_1f8eb663ce258865
__hip_cuid_1f8eb663ce258865:
	.byte	0                               ; 0x0
	.size	__hip_cuid_1f8eb663ce258865, 1

	.ident	"AMD clang version 19.0.0git (https://github.com/RadeonOpenCompute/llvm-project roc-6.4.0 25133 c7fe45cf4b819c5991fe208aaa96edf142730f1d)"
	.section	".note.GNU-stack","",@progbits
	.addrsig
	.addrsig_sym __hip_cuid_1f8eb663ce258865
	.amdgpu_metadata
---
amdhsa.kernels:
  - .args:
      - .actual_access:  read_only
        .address_space:  global
        .offset:         0
        .size:           8
        .value_kind:     global_buffer
      - .offset:         8
        .size:           8
        .value_kind:     by_value
      - .actual_access:  read_only
        .address_space:  global
        .offset:         16
        .size:           8
        .value_kind:     global_buffer
      - .actual_access:  read_only
        .address_space:  global
        .offset:         24
        .size:           8
        .value_kind:     global_buffer
      - .actual_access:  read_only
        .address_space:  global
        .offset:         32
        .size:           8
        .value_kind:     global_buffer
      - .offset:         40
        .size:           8
        .value_kind:     by_value
      - .actual_access:  read_only
        .address_space:  global
        .offset:         48
        .size:           8
        .value_kind:     global_buffer
      - .actual_access:  read_only
        .address_space:  global
        .offset:         56
        .size:           8
        .value_kind:     global_buffer
      - .offset:         64
        .size:           4
        .value_kind:     by_value
      - .actual_access:  read_only
        .address_space:  global
        .offset:         72
        .size:           8
        .value_kind:     global_buffer
      - .actual_access:  read_only
        .address_space:  global
        .offset:         80
        .size:           8
        .value_kind:     global_buffer
      - .actual_access:  read_only
        .address_space:  global
        .offset:         88
        .size:           8
        .value_kind:     global_buffer
      - .actual_access:  write_only
        .address_space:  global
        .offset:         96
        .size:           8
        .value_kind:     global_buffer
    .group_segment_fixed_size: 0
    .kernarg_segment_align: 8
    .kernarg_segment_size: 104
    .language:       OpenCL C
    .language_version:
      - 2
      - 0
    .max_flat_workgroup_size: 231
    .name:           fft_rtc_fwd_len1848_factors_3_11_7_4_2_wgs_231_tpt_231_halfLds_sp_op_CI_CI_unitstride_sbrr_dirReg
    .private_segment_fixed_size: 0
    .sgpr_count:     32
    .sgpr_spill_count: 0
    .symbol:         fft_rtc_fwd_len1848_factors_3_11_7_4_2_wgs_231_tpt_231_halfLds_sp_op_CI_CI_unitstride_sbrr_dirReg.kd
    .uniform_work_group_size: 1
    .uses_dynamic_stack: false
    .vgpr_count:     87
    .vgpr_spill_count: 0
    .wavefront_size: 64
amdhsa.target:   amdgcn-amd-amdhsa--gfx906
amdhsa.version:
  - 1
  - 2
...

	.end_amdgpu_metadata
